;; amdgpu-corpus repo=ROCm/rocFFT kind=compiled arch=gfx906 opt=O3
	.text
	.amdgcn_target "amdgcn-amd-amdhsa--gfx906"
	.amdhsa_code_object_version 6
	.protected	fft_rtc_fwd_len1750_factors_2_5_5_7_5_wgs_175_tpt_175_halfLds_dp_op_CI_CI_sbrr_dirReg ; -- Begin function fft_rtc_fwd_len1750_factors_2_5_5_7_5_wgs_175_tpt_175_halfLds_dp_op_CI_CI_sbrr_dirReg
	.globl	fft_rtc_fwd_len1750_factors_2_5_5_7_5_wgs_175_tpt_175_halfLds_dp_op_CI_CI_sbrr_dirReg
	.p2align	8
	.type	fft_rtc_fwd_len1750_factors_2_5_5_7_5_wgs_175_tpt_175_halfLds_dp_op_CI_CI_sbrr_dirReg,@function
fft_rtc_fwd_len1750_factors_2_5_5_7_5_wgs_175_tpt_175_halfLds_dp_op_CI_CI_sbrr_dirReg: ; @fft_rtc_fwd_len1750_factors_2_5_5_7_5_wgs_175_tpt_175_halfLds_dp_op_CI_CI_sbrr_dirReg
; %bb.0:
	s_load_dwordx4 s[16:19], s[4:5], 0x18
	s_load_dwordx4 s[12:15], s[4:5], 0x0
	;; [unrolled: 1-line block ×3, first 2 shown]
	v_mul_u32_u24_e32 v1, 0x177, v0
	v_add_u32_sdwa v6, s6, v1 dst_sel:DWORD dst_unused:UNUSED_PAD src0_sel:DWORD src1_sel:WORD_1
	s_waitcnt lgkmcnt(0)
	s_load_dwordx2 s[20:21], s[16:17], 0x0
	s_load_dwordx2 s[2:3], s[18:19], 0x0
	v_cmp_lt_u64_e64 s[0:1], s[14:15], 2
	v_mov_b32_e32 v1, 0
	v_mov_b32_e32 v4, 0
	;; [unrolled: 1-line block ×3, first 2 shown]
	s_and_b64 vcc, exec, s[0:1]
	v_mov_b32_e32 v5, 0
	s_cbranch_vccnz .LBB0_8
; %bb.1:
	s_load_dwordx2 s[0:1], s[4:5], 0x10
	s_add_u32 s6, s18, 8
	s_addc_u32 s7, s19, 0
	s_add_u32 s22, s16, 8
	v_mov_b32_e32 v4, 0
	s_addc_u32 s23, s17, 0
	v_mov_b32_e32 v5, 0
	s_waitcnt lgkmcnt(0)
	s_add_u32 s24, s0, 8
	v_mov_b32_e32 v49, v5
	s_addc_u32 s25, s1, 0
	s_mov_b64 s[26:27], 1
	v_mov_b32_e32 v48, v4
.LBB0_2:                                ; =>This Inner Loop Header: Depth=1
	s_load_dwordx2 s[28:29], s[24:25], 0x0
                                        ; implicit-def: $vgpr50_vgpr51
	s_waitcnt lgkmcnt(0)
	v_or_b32_e32 v2, s29, v7
	v_cmp_ne_u64_e32 vcc, 0, v[1:2]
	s_and_saveexec_b64 s[0:1], vcc
	s_xor_b64 s[30:31], exec, s[0:1]
	s_cbranch_execz .LBB0_4
; %bb.3:                                ;   in Loop: Header=BB0_2 Depth=1
	v_cvt_f32_u32_e32 v2, s28
	v_cvt_f32_u32_e32 v3, s29
	s_sub_u32 s0, 0, s28
	s_subb_u32 s1, 0, s29
	v_mac_f32_e32 v2, 0x4f800000, v3
	v_rcp_f32_e32 v2, v2
	v_mul_f32_e32 v2, 0x5f7ffffc, v2
	v_mul_f32_e32 v3, 0x2f800000, v2
	v_trunc_f32_e32 v3, v3
	v_mac_f32_e32 v2, 0xcf800000, v3
	v_cvt_u32_f32_e32 v3, v3
	v_cvt_u32_f32_e32 v2, v2
	v_mul_lo_u32 v8, s0, v3
	v_mul_hi_u32 v9, s0, v2
	v_mul_lo_u32 v11, s1, v2
	v_mul_lo_u32 v10, s0, v2
	v_add_u32_e32 v8, v9, v8
	v_add_u32_e32 v8, v8, v11
	v_mul_hi_u32 v9, v2, v10
	v_mul_lo_u32 v11, v2, v8
	v_mul_hi_u32 v13, v2, v8
	v_mul_hi_u32 v12, v3, v10
	v_mul_lo_u32 v10, v3, v10
	v_mul_hi_u32 v14, v3, v8
	v_add_co_u32_e32 v9, vcc, v9, v11
	v_addc_co_u32_e32 v11, vcc, 0, v13, vcc
	v_mul_lo_u32 v8, v3, v8
	v_add_co_u32_e32 v9, vcc, v9, v10
	v_addc_co_u32_e32 v9, vcc, v11, v12, vcc
	v_addc_co_u32_e32 v10, vcc, 0, v14, vcc
	v_add_co_u32_e32 v8, vcc, v9, v8
	v_addc_co_u32_e32 v9, vcc, 0, v10, vcc
	v_add_co_u32_e32 v2, vcc, v2, v8
	v_addc_co_u32_e32 v3, vcc, v3, v9, vcc
	v_mul_lo_u32 v8, s0, v3
	v_mul_hi_u32 v9, s0, v2
	v_mul_lo_u32 v10, s1, v2
	v_mul_lo_u32 v11, s0, v2
	v_add_u32_e32 v8, v9, v8
	v_add_u32_e32 v8, v8, v10
	v_mul_lo_u32 v12, v2, v8
	v_mul_hi_u32 v13, v2, v11
	v_mul_hi_u32 v14, v2, v8
	;; [unrolled: 1-line block ×3, first 2 shown]
	v_mul_lo_u32 v11, v3, v11
	v_mul_hi_u32 v9, v3, v8
	v_add_co_u32_e32 v12, vcc, v13, v12
	v_addc_co_u32_e32 v13, vcc, 0, v14, vcc
	v_mul_lo_u32 v8, v3, v8
	v_add_co_u32_e32 v11, vcc, v12, v11
	v_addc_co_u32_e32 v10, vcc, v13, v10, vcc
	v_addc_co_u32_e32 v9, vcc, 0, v9, vcc
	v_add_co_u32_e32 v8, vcc, v10, v8
	v_addc_co_u32_e32 v9, vcc, 0, v9, vcc
	v_add_co_u32_e32 v8, vcc, v2, v8
	v_addc_co_u32_e32 v9, vcc, v3, v9, vcc
	v_mad_u64_u32 v[2:3], s[0:1], v6, v9, 0
	v_mul_hi_u32 v10, v6, v8
	v_add_co_u32_e32 v10, vcc, v10, v2
	v_addc_co_u32_e32 v11, vcc, 0, v3, vcc
	v_mad_u64_u32 v[2:3], s[0:1], v7, v8, 0
	v_mad_u64_u32 v[8:9], s[0:1], v7, v9, 0
	v_add_co_u32_e32 v2, vcc, v10, v2
	v_addc_co_u32_e32 v2, vcc, v11, v3, vcc
	v_addc_co_u32_e32 v3, vcc, 0, v9, vcc
	v_add_co_u32_e32 v8, vcc, v2, v8
	v_addc_co_u32_e32 v9, vcc, 0, v3, vcc
	v_mul_lo_u32 v10, s29, v8
	v_mul_lo_u32 v11, s28, v9
	v_mad_u64_u32 v[2:3], s[0:1], s28, v8, 0
	v_add3_u32 v3, v3, v11, v10
	v_sub_u32_e32 v10, v7, v3
	v_mov_b32_e32 v11, s29
	v_sub_co_u32_e32 v2, vcc, v6, v2
	v_subb_co_u32_e64 v10, s[0:1], v10, v11, vcc
	v_subrev_co_u32_e64 v11, s[0:1], s28, v2
	v_subbrev_co_u32_e64 v10, s[0:1], 0, v10, s[0:1]
	v_cmp_le_u32_e64 s[0:1], s29, v10
	v_cndmask_b32_e64 v12, 0, -1, s[0:1]
	v_cmp_le_u32_e64 s[0:1], s28, v11
	v_cndmask_b32_e64 v11, 0, -1, s[0:1]
	v_cmp_eq_u32_e64 s[0:1], s29, v10
	v_cndmask_b32_e64 v10, v12, v11, s[0:1]
	v_add_co_u32_e64 v11, s[0:1], 2, v8
	v_addc_co_u32_e64 v12, s[0:1], 0, v9, s[0:1]
	v_add_co_u32_e64 v13, s[0:1], 1, v8
	v_addc_co_u32_e64 v14, s[0:1], 0, v9, s[0:1]
	v_subb_co_u32_e32 v3, vcc, v7, v3, vcc
	v_cmp_ne_u32_e64 s[0:1], 0, v10
	v_cmp_le_u32_e32 vcc, s29, v3
	v_cndmask_b32_e64 v10, v14, v12, s[0:1]
	v_cndmask_b32_e64 v12, 0, -1, vcc
	v_cmp_le_u32_e32 vcc, s28, v2
	v_cndmask_b32_e64 v2, 0, -1, vcc
	v_cmp_eq_u32_e32 vcc, s29, v3
	v_cndmask_b32_e32 v2, v12, v2, vcc
	v_cmp_ne_u32_e32 vcc, 0, v2
	v_cndmask_b32_e64 v2, v13, v11, s[0:1]
	v_cndmask_b32_e32 v51, v9, v10, vcc
	v_cndmask_b32_e32 v50, v8, v2, vcc
.LBB0_4:                                ;   in Loop: Header=BB0_2 Depth=1
	s_andn2_saveexec_b64 s[0:1], s[30:31]
	s_cbranch_execz .LBB0_6
; %bb.5:                                ;   in Loop: Header=BB0_2 Depth=1
	v_cvt_f32_u32_e32 v2, s28
	s_sub_i32 s30, 0, s28
	v_mov_b32_e32 v51, v1
	v_rcp_iflag_f32_e32 v2, v2
	v_mul_f32_e32 v2, 0x4f7ffffe, v2
	v_cvt_u32_f32_e32 v2, v2
	v_mul_lo_u32 v3, s30, v2
	v_mul_hi_u32 v3, v2, v3
	v_add_u32_e32 v2, v2, v3
	v_mul_hi_u32 v2, v6, v2
	v_mul_lo_u32 v3, v2, s28
	v_add_u32_e32 v8, 1, v2
	v_sub_u32_e32 v3, v6, v3
	v_subrev_u32_e32 v9, s28, v3
	v_cmp_le_u32_e32 vcc, s28, v3
	v_cndmask_b32_e32 v3, v3, v9, vcc
	v_cndmask_b32_e32 v2, v2, v8, vcc
	v_add_u32_e32 v8, 1, v2
	v_cmp_le_u32_e32 vcc, s28, v3
	v_cndmask_b32_e32 v50, v2, v8, vcc
.LBB0_6:                                ;   in Loop: Header=BB0_2 Depth=1
	s_or_b64 exec, exec, s[0:1]
	v_mul_lo_u32 v8, v51, s28
	v_mul_lo_u32 v9, v50, s29
	v_mad_u64_u32 v[2:3], s[0:1], v50, s28, 0
	s_load_dwordx2 s[0:1], s[22:23], 0x0
	s_load_dwordx2 s[28:29], s[6:7], 0x0
	v_add3_u32 v3, v3, v9, v8
	v_sub_co_u32_e32 v2, vcc, v6, v2
	v_subb_co_u32_e32 v3, vcc, v7, v3, vcc
	s_waitcnt lgkmcnt(0)
	v_mul_lo_u32 v6, s0, v3
	v_mul_lo_u32 v7, s1, v2
	v_mad_u64_u32 v[4:5], s[0:1], s0, v2, v[4:5]
	v_mul_lo_u32 v3, s28, v3
	v_mul_lo_u32 v8, s29, v2
	v_mad_u64_u32 v[48:49], s[0:1], s28, v2, v[48:49]
	s_add_u32 s26, s26, 1
	s_addc_u32 s27, s27, 0
	s_add_u32 s6, s6, 8
	v_add3_u32 v49, v8, v49, v3
	s_addc_u32 s7, s7, 0
	v_mov_b32_e32 v2, s14
	s_add_u32 s22, s22, 8
	v_mov_b32_e32 v3, s15
	s_addc_u32 s23, s23, 0
	v_cmp_ge_u64_e32 vcc, s[26:27], v[2:3]
	s_add_u32 s24, s24, 8
	v_add3_u32 v5, v7, v5, v6
	s_addc_u32 s25, s25, 0
	s_cbranch_vccnz .LBB0_9
; %bb.7:                                ;   in Loop: Header=BB0_2 Depth=1
	v_mov_b32_e32 v6, v50
	v_mov_b32_e32 v7, v51
	s_branch .LBB0_2
.LBB0_8:
	v_mov_b32_e32 v49, v5
	v_mov_b32_e32 v51, v7
	;; [unrolled: 1-line block ×4, first 2 shown]
.LBB0_9:
	s_load_dwordx2 s[0:1], s[4:5], 0x28
	s_lshl_b64 s[14:15], s[14:15], 3
	s_add_u32 s4, s18, s14
	s_addc_u32 s5, s19, s15
                                        ; implicit-def: $vgpr68
                                        ; implicit-def: $vgpr69
                                        ; implicit-def: $vgpr40
                                        ; implicit-def: $vgpr41
	s_waitcnt lgkmcnt(0)
	v_cmp_gt_u64_e32 vcc, s[0:1], v[50:51]
	v_cmp_le_u64_e64 s[0:1], s[0:1], v[50:51]
	s_and_saveexec_b64 s[6:7], s[0:1]
	s_xor_b64 s[0:1], exec, s[6:7]
; %bb.10:
	s_mov_b32 s6, 0x1767dcf
	v_mul_hi_u32 v1, v0, s6
                                        ; implicit-def: $vgpr4_vgpr5
	v_mul_u32_u24_e32 v1, 0xaf, v1
	v_sub_u32_e32 v68, v0, v1
	v_add_u32_e32 v69, 0xaf, v68
	v_add_u32_e32 v40, 0x15e, v68
	;; [unrolled: 1-line block ×3, first 2 shown]
                                        ; implicit-def: $vgpr0
; %bb.11:
	s_or_saveexec_b64 s[6:7], s[0:1]
                                        ; implicit-def: $vgpr18_vgpr19
                                        ; implicit-def: $vgpr2_vgpr3
                                        ; implicit-def: $vgpr22_vgpr23
                                        ; implicit-def: $vgpr6_vgpr7
                                        ; implicit-def: $vgpr30_vgpr31
                                        ; implicit-def: $vgpr10_vgpr11
                                        ; implicit-def: $vgpr34_vgpr35
                                        ; implicit-def: $vgpr14_vgpr15
                                        ; implicit-def: $vgpr38_vgpr39
                                        ; implicit-def: $vgpr26_vgpr27
	s_xor_b64 exec, exec, s[6:7]
	s_cbranch_execz .LBB0_13
; %bb.12:
	s_add_u32 s0, s16, s14
	s_mov_b32 s14, 0x1767dcf
	s_addc_u32 s1, s17, s15
	v_mul_hi_u32 v1, v0, s14
	s_load_dwordx2 s[0:1], s[0:1], 0x0
	v_mul_u32_u24_e32 v1, 0xaf, v1
	v_sub_u32_e32 v68, v0, v1
	s_waitcnt lgkmcnt(0)
	v_mul_lo_u32 v8, s1, v50
	v_mad_u64_u32 v[0:1], s[14:15], s20, v68, 0
	v_mul_lo_u32 v9, s0, v51
	v_mad_u64_u32 v[2:3], s[0:1], s0, v50, 0
	v_add_u32_e32 v69, 0xaf, v68
	v_add_u32_e32 v40, 0x15e, v68
	v_mad_u64_u32 v[6:7], s[0:1], s21, v68, v[1:2]
	v_add3_u32 v3, v3, v9, v8
	v_lshlrev_b64 v[2:3], 4, v[2:3]
	v_mov_b32_e32 v1, v6
	v_mov_b32_e32 v6, s9
	v_add_co_u32_e64 v7, s[0:1], s8, v2
	v_add_u32_e32 v8, 0x36b, v68
	v_addc_co_u32_e64 v6, s[0:1], v6, v3, s[0:1]
	v_lshlrev_b64 v[2:3], 4, v[4:5]
	v_mad_u64_u32 v[4:5], s[0:1], s20, v8, 0
	v_add_co_u32_e64 v9, s[0:1], v7, v2
	v_mov_b32_e32 v2, v5
	v_addc_co_u32_e64 v10, s[0:1], v6, v3, s[0:1]
	v_mad_u64_u32 v[2:3], s[0:1], s21, v8, v[2:3]
	v_mad_u64_u32 v[6:7], s[0:1], s20, v69, 0
	v_lshlrev_b64 v[0:1], 4, v[0:1]
	v_mov_b32_e32 v5, v2
	v_add_co_u32_e64 v42, s[0:1], v9, v0
	v_mov_b32_e32 v2, v7
	v_addc_co_u32_e64 v43, s[0:1], v10, v1, s[0:1]
	v_lshlrev_b64 v[0:1], 4, v[4:5]
	v_mad_u64_u32 v[2:3], s[0:1], s21, v69, v[2:3]
	v_add_u32_e32 v5, 0x41a, v68
	v_mad_u64_u32 v[3:4], s[0:1], s20, v5, 0
	v_add_co_u32_e64 v44, s[0:1], v9, v0
	v_mov_b32_e32 v7, v2
	v_mov_b32_e32 v2, v4
	v_addc_co_u32_e64 v45, s[0:1], v10, v1, s[0:1]
	v_mad_u64_u32 v[4:5], s[0:1], s21, v5, v[2:3]
	v_lshlrev_b64 v[0:1], 4, v[6:7]
	v_mad_u64_u32 v[5:6], s[0:1], s20, v40, 0
	v_add_co_u32_e64 v46, s[0:1], v9, v0
	v_mov_b32_e32 v2, v6
	v_addc_co_u32_e64 v47, s[0:1], v10, v1, s[0:1]
	v_lshlrev_b64 v[0:1], 4, v[3:4]
	v_mad_u64_u32 v[2:3], s[0:1], s21, v40, v[2:3]
	v_add_u32_e32 v7, 0x4c9, v68
	v_mad_u64_u32 v[3:4], s[0:1], s20, v7, 0
	v_add_co_u32_e64 v52, s[0:1], v9, v0
	v_mov_b32_e32 v6, v2
	v_mov_b32_e32 v2, v4
	v_addc_co_u32_e64 v53, s[0:1], v10, v1, s[0:1]
	v_lshlrev_b64 v[0:1], 4, v[5:6]
	v_mad_u64_u32 v[4:5], s[0:1], s21, v7, v[2:3]
	v_add_u32_e32 v7, 0x20d, v68
	v_mad_u64_u32 v[5:6], s[0:1], s20, v7, 0
	v_add_co_u32_e64 v54, s[0:1], v9, v0
	v_mov_b32_e32 v2, v6
	v_addc_co_u32_e64 v55, s[0:1], v10, v1, s[0:1]
	v_lshlrev_b64 v[0:1], 4, v[3:4]
	v_mad_u64_u32 v[2:3], s[0:1], s21, v7, v[2:3]
	v_add_u32_e32 v7, 0x578, v68
	v_mad_u64_u32 v[3:4], s[0:1], s20, v7, 0
	v_add_co_u32_e64 v56, s[0:1], v9, v0
	v_mov_b32_e32 v6, v2
	v_mov_b32_e32 v2, v4
	v_addc_co_u32_e64 v57, s[0:1], v10, v1, s[0:1]
	v_lshlrev_b64 v[0:1], 4, v[5:6]
	v_mad_u64_u32 v[4:5], s[0:1], s21, v7, v[2:3]
	v_add_u32_e32 v41, 0x2bc, v68
	v_mad_u64_u32 v[5:6], s[0:1], s20, v41, 0
	v_add_co_u32_e64 v58, s[0:1], v9, v0
	v_mov_b32_e32 v2, v6
	v_addc_co_u32_e64 v59, s[0:1], v10, v1, s[0:1]
	v_lshlrev_b64 v[0:1], 4, v[3:4]
	v_mad_u64_u32 v[2:3], s[0:1], s21, v41, v[2:3]
	v_add_u32_e32 v7, 0x627, v68
	v_mad_u64_u32 v[3:4], s[0:1], s20, v7, 0
	v_add_co_u32_e64 v60, s[0:1], v9, v0
	v_mov_b32_e32 v6, v2
	v_mov_b32_e32 v2, v4
	v_addc_co_u32_e64 v61, s[0:1], v10, v1, s[0:1]
	v_lshlrev_b64 v[0:1], 4, v[5:6]
	v_mad_u64_u32 v[4:5], s[0:1], s21, v7, v[2:3]
	v_add_co_u32_e64 v62, s[0:1], v9, v0
	v_addc_co_u32_e64 v63, s[0:1], v10, v1, s[0:1]
	v_lshlrev_b64 v[0:1], 4, v[3:4]
	v_add_co_u32_e64 v64, s[0:1], v9, v0
	v_addc_co_u32_e64 v65, s[0:1], v10, v1, s[0:1]
	global_load_dwordx4 v[24:27], v[42:43], off
	global_load_dwordx4 v[36:39], v[44:45], off
	;; [unrolled: 1-line block ×10, first 2 shown]
.LBB0_13:
	s_or_b64 exec, exec, s[6:7]
	s_waitcnt vmcnt(8)
	v_add_f64 v[36:37], v[24:25], -v[36:37]
	v_add_f64 v[44:45], v[26:27], -v[38:39]
	s_waitcnt vmcnt(6)
	v_add_f64 v[32:33], v[12:13], -v[32:33]
	v_add_f64 v[54:55], v[14:15], -v[34:35]
	s_waitcnt vmcnt(4)
	v_add_f64 v[28:29], v[8:9], -v[28:29]
	s_waitcnt vmcnt(0)
	v_add_f64 v[16:17], v[0:1], -v[16:17]
	v_add_f64 v[20:21], v[4:5], -v[20:21]
	;; [unrolled: 1-line block ×3, first 2 shown]
	v_fma_f64 v[34:35], v[24:25], 2.0, -v[36:37]
	v_add_f64 v[24:25], v[6:7], -v[22:23]
	v_add_f64 v[62:63], v[2:3], -v[18:19]
	v_fma_f64 v[42:43], v[26:27], 2.0, -v[44:45]
	v_fma_f64 v[30:31], v[12:13], 2.0, -v[32:33]
	;; [unrolled: 1-line block ×9, first 2 shown]
	v_lshl_add_u32 v8, v68, 4, 0
	v_lshlrev_b32_e32 v4, 3, v68
	v_lshl_add_u32 v71, v41, 4, 0
	v_sub_u32_e32 v10, v8, v4
	v_lshlrev_b32_e32 v75, 3, v41
	v_and_b32_e32 v7, 1, v68
	v_lshl_add_u32 v9, v69, 4, 0
	v_lshl_add_u32 v70, v40, 4, 0
	v_lshlrev_b32_e32 v74, 3, v40
	v_sub_u32_e32 v0, v71, v75
	v_add_u32_e32 v3, 0x1a00, v10
	v_add_u32_e32 v2, 0x2400, v10
	v_lshlrev_b32_e32 v5, 3, v69
	v_lshlrev_b32_e32 v47, 6, v7
	s_load_dwordx2 s[4:5], s[4:5], 0x0
	ds_write_b128 v8, v[34:37]
	ds_write_b128 v9, v[30:33]
	;; [unrolled: 1-line block ×3, first 2 shown]
	ds_write_b128 v8, v[18:21] offset:8400
	ds_write_b128 v71, v[14:17]
	s_waitcnt lgkmcnt(0)
	s_barrier
	v_sub_u32_e32 v6, v70, v74
	ds_read2_b64 v[11:14], v3 offset0:43 offset1:218
	ds_read2_b64 v[15:18], v2 offset0:73 offset1:248
	v_sub_u32_e32 v1, v9, v5
	ds_read_b64 v[64:65], v0
	ds_read_b64 v[66:67], v1
	;; [unrolled: 1-line block ×3, first 2 shown]
	ds_read_b64 v[76:77], v10 offset:4200
	ds_read_b64 v[78:79], v6
	ds_read_b64 v[80:81], v10 offset:12600
	s_waitcnt lgkmcnt(0)
	s_barrier
	ds_write_b128 v8, v[42:45]
	ds_write_b128 v9, v[52:55]
	;; [unrolled: 1-line block ×3, first 2 shown]
	ds_write_b128 v8, v[22:25] offset:8400
	ds_write_b128 v71, v[60:63]
	s_waitcnt lgkmcnt(0)
	s_barrier
	v_and_b32_e32 v110, 1, v69
	global_load_dwordx4 v[19:22], v47, s[12:13] offset:32
	v_lshlrev_b32_e32 v56, 6, v110
	global_load_dwordx4 v[23:26], v56, s[12:13] offset:16
	global_load_dwordx4 v[27:30], v47, s[12:13] offset:48
	;; [unrolled: 1-line block ×3, first 2 shown]
	global_load_dwordx4 v[35:38], v47, s[12:13]
	global_load_dwordx4 v[39:42], v47, s[12:13] offset:16
	global_load_dwordx4 v[43:46], v56, s[12:13]
	global_load_dwordx4 v[52:55], v56, s[12:13] offset:48
	ds_read2_b64 v[56:59], v3 offset0:43 offset1:218
	ds_read2_b64 v[60:63], v2 offset0:73 offset1:248
	ds_read_b64 v[82:83], v0
	ds_read_b64 v[84:85], v1
	;; [unrolled: 1-line block ×3, first 2 shown]
	ds_read_b64 v[88:89], v10 offset:12600
	ds_read_b64 v[90:91], v10 offset:4200
	ds_read_b64 v[92:93], v10
	s_mov_b32 s6, 0x134454ff
	s_mov_b32 s7, 0x3fee6f0e
	s_mov_b32 s17, 0xbfee6f0e
	s_mov_b32 s16, s6
	s_mov_b32 s8, 0x4755a5e
	s_mov_b32 s9, 0x3fe2cf23
	s_mov_b32 s15, 0xbfe2cf23
	s_mov_b32 s14, s8
	s_mov_b32 s18, 0x372fe950
	s_mov_b32 s19, 0x3fd3c6ef
	s_waitcnt vmcnt(0) lgkmcnt(0)
	s_barrier
	s_movk_i32 s0, 0xcd
	v_mul_f64 v[96:97], v[56:57], v[25:26]
	v_mul_f64 v[98:99], v[62:63], v[29:30]
	;; [unrolled: 1-line block ×11, first 2 shown]
	v_fma_f64 v[17:18], v[17:18], v[27:28], -v[98:99]
	v_fma_f64 v[13:14], v[13:14], v[19:20], -v[94:95]
	v_fma_f64 v[19:20], v[58:59], v[19:20], v[21:22]
	v_fma_f64 v[21:22], v[78:79], v[35:36], -v[102:103]
	v_fma_f64 v[58:59], v[64:65], v[39:40], -v[104:105]
	v_mul_f64 v[41:42], v[64:65], v[41:42]
	v_mul_f64 v[106:107], v[90:91], v[45:46]
	;; [unrolled: 1-line block ×5, first 2 shown]
	v_fma_f64 v[11:12], v[11:12], v[23:24], -v[96:97]
	v_fma_f64 v[23:24], v[56:57], v[23:24], v[25:26]
	v_fma_f64 v[25:26], v[62:63], v[27:28], v[29:30]
	v_fma_f64 v[15:16], v[15:16], v[31:32], -v[100:101]
	v_fma_f64 v[27:28], v[60:61], v[31:32], v[33:34]
	v_fma_f64 v[29:30], v[86:87], v[35:36], v[37:38]
	v_add_f64 v[31:32], v[21:22], -v[58:59]
	v_add_f64 v[33:34], v[17:18], -v[13:14]
	v_add_f64 v[35:36], v[58:59], v[13:14]
	v_fma_f64 v[37:38], v[82:83], v[39:40], v[41:42]
	v_fma_f64 v[39:40], v[76:77], v[43:44], -v[106:107]
	v_fma_f64 v[41:42], v[90:91], v[43:44], v[45:46]
	v_fma_f64 v[43:44], v[80:81], v[52:53], -v[108:109]
	v_fma_f64 v[45:46], v[88:89], v[52:53], v[54:55]
	v_add_f64 v[52:53], v[21:22], v[17:18]
	v_add_f64 v[31:32], v[31:32], v[33:34]
	v_fma_f64 v[33:34], v[35:36], -0.5, v[72:73]
	v_add_f64 v[35:36], v[29:30], -v[25:26]
	v_add_f64 v[54:55], v[37:38], -v[19:20]
	v_add_f64 v[62:63], v[72:73], v[21:22]
	v_add_f64 v[60:61], v[58:59], -v[21:22]
	v_add_f64 v[64:65], v[13:14], -v[17:18]
	v_fma_f64 v[52:53], v[52:53], -0.5, v[72:73]
	v_add_f64 v[76:77], v[37:38], v[19:20]
	v_add_f64 v[21:22], v[21:22], -v[17:18]
	v_fma_f64 v[56:57], v[35:36], s[6:7], v[33:34]
	v_fma_f64 v[33:34], v[35:36], s[16:17], v[33:34]
	v_add_f64 v[60:61], v[60:61], v[64:65]
	v_fma_f64 v[72:73], v[54:55], s[16:17], v[52:53]
	v_fma_f64 v[52:53], v[54:55], s[6:7], v[52:53]
	v_fma_f64 v[76:77], v[76:77], -0.5, v[92:93]
	v_fma_f64 v[56:57], v[54:55], s[8:9], v[56:57]
	v_fma_f64 v[33:34], v[54:55], s[14:15], v[33:34]
	v_add_f64 v[54:55], v[62:63], v[58:59]
	v_add_f64 v[62:63], v[29:30], v[25:26]
	v_fma_f64 v[64:65], v[35:36], s[8:9], v[72:73]
	v_add_f64 v[72:73], v[92:93], v[29:30]
	v_fma_f64 v[35:36], v[35:36], s[14:15], v[52:53]
	v_fma_f64 v[78:79], v[21:22], s[16:17], v[76:77]
	;; [unrolled: 1-line block ×3, first 2 shown]
	v_add_f64 v[52:53], v[54:55], v[13:14]
	v_add_f64 v[13:14], v[58:59], -v[13:14]
	v_fma_f64 v[54:55], v[62:63], -0.5, v[92:93]
	v_add_f64 v[58:59], v[29:30], -v[37:38]
	v_add_f64 v[72:73], v[72:73], v[37:38]
	v_add_f64 v[29:30], v[37:38], -v[29:30]
	v_add_f64 v[37:38], v[19:20], -v[25:26]
	;; [unrolled: 1-line block ×3, first 2 shown]
	v_add_f64 v[17:18], v[52:53], v[17:18]
	v_fma_f64 v[56:57], v[31:32], s[18:19], v[56:57]
	v_fma_f64 v[80:81], v[13:14], s[6:7], v[54:55]
	;; [unrolled: 1-line block ×3, first 2 shown]
	v_add_f64 v[19:20], v[72:73], v[19:20]
	v_fma_f64 v[31:32], v[31:32], s[18:19], v[33:34]
	v_add_f64 v[29:30], v[29:30], v[37:38]
	v_add_f64 v[52:53], v[58:59], v[62:63]
	v_fma_f64 v[58:59], v[13:14], s[14:15], v[78:79]
	v_fma_f64 v[13:14], v[13:14], s[8:9], v[76:77]
	;; [unrolled: 1-line block ×4, first 2 shown]
	v_add_f64 v[54:55], v[11:12], v[15:16]
	v_fma_f64 v[33:34], v[60:61], s[18:19], v[64:65]
	v_fma_f64 v[35:36], v[60:61], s[18:19], v[35:36]
	v_add_f64 v[19:20], v[19:20], v[25:26]
	v_add_f64 v[25:26], v[39:40], v[43:44]
	v_add_f64 v[60:61], v[41:42], -v[45:46]
	v_fma_f64 v[58:59], v[52:53], s[18:19], v[58:59]
	v_fma_f64 v[52:53], v[52:53], s[18:19], v[13:14]
	v_fma_f64 v[54:55], v[54:55], -0.5, v[66:67]
	v_add_f64 v[13:14], v[39:40], -v[11:12]
	v_add_f64 v[62:63], v[43:44], -v[15:16]
	;; [unrolled: 1-line block ×3, first 2 shown]
	v_fma_f64 v[25:26], v[25:26], -0.5, v[66:67]
	v_add_f64 v[66:67], v[66:67], v[39:40]
	v_fma_f64 v[37:38], v[29:30], s[18:19], v[37:38]
	v_fma_f64 v[21:22], v[29:30], s[18:19], v[21:22]
	;; [unrolled: 1-line block ×4, first 2 shown]
	v_add_f64 v[29:30], v[11:12], -v[39:40]
	v_add_f64 v[76:77], v[15:16], -v[43:44]
	v_add_f64 v[78:79], v[23:24], v[27:28]
	v_add_f64 v[13:14], v[13:14], v[62:63]
	v_fma_f64 v[62:63], v[64:65], s[16:17], v[25:26]
	v_fma_f64 v[25:26], v[64:65], s[6:7], v[25:26]
	;; [unrolled: 1-line block ×4, first 2 shown]
	v_add_f64 v[64:65], v[66:67], v[11:12]
	v_add_f64 v[66:67], v[41:42], v[45:46]
	v_add_f64 v[29:30], v[29:30], v[76:77]
	v_add_f64 v[39:40], v[39:40], -v[43:44]
	v_add_f64 v[76:77], v[84:85], v[41:42]
	v_fma_f64 v[78:79], v[78:79], -0.5, v[84:85]
	v_fma_f64 v[62:63], v[60:61], s[8:9], v[62:63]
	v_fma_f64 v[25:26], v[60:61], s[14:15], v[25:26]
	v_add_f64 v[60:61], v[64:65], v[15:16]
	v_add_f64 v[11:12], v[11:12], -v[15:16]
	v_fma_f64 v[15:16], v[66:67], -0.5, v[84:85]
	v_add_f64 v[64:65], v[41:42], -v[23:24]
	v_add_f64 v[66:67], v[45:46], -v[27:28]
	v_add_f64 v[76:77], v[76:77], v[23:24]
	v_fma_f64 v[80:81], v[39:40], s[16:17], v[78:79]
	v_fma_f64 v[78:79], v[39:40], s[6:7], v[78:79]
	v_add_f64 v[23:24], v[23:24], -v[41:42]
	v_add_f64 v[41:42], v[27:28], -v[45:46]
	v_fma_f64 v[82:83], v[11:12], s[6:7], v[15:16]
	v_fma_f64 v[15:16], v[11:12], s[16:17], v[15:16]
	v_add_f64 v[43:44], v[60:61], v[43:44]
	v_add_f64 v[60:61], v[64:65], v[66:67]
	v_fma_f64 v[64:65], v[11:12], s[14:15], v[80:81]
	v_fma_f64 v[11:12], v[11:12], s[8:9], v[78:79]
	v_add_f64 v[27:28], v[76:77], v[27:28]
	v_add_f64 v[23:24], v[23:24], v[41:42]
	v_fma_f64 v[41:42], v[39:40], s[14:15], v[82:83]
	v_fma_f64 v[15:16], v[39:40], s[8:9], v[15:16]
	;; [unrolled: 1-line block ×6, first 2 shown]
	v_add_f64 v[27:28], v[27:28], v[45:46]
	v_fma_f64 v[45:46], v[60:61], s[18:19], v[11:12]
	v_lshrrev_b32_e32 v11, 1, v68
	v_mul_u32_u24_e32 v11, 10, v11
	v_or_b32_e32 v7, v11, v7
	v_lshrrev_b32_e32 v11, 1, v69
	v_mul_lo_u32 v11, v11, 10
	v_fma_f64 v[29:30], v[60:61], s[18:19], v[64:65]
	v_fma_f64 v[41:42], v[23:24], s[18:19], v[41:42]
	;; [unrolled: 1-line block ×3, first 2 shown]
	v_lshl_add_u32 v7, v7, 3, 0
	v_or_b32_e32 v11, v11, v110
	ds_write2_b64 v7, v[17:18], v[56:57] offset1:2
	ds_write2_b64 v7, v[33:34], v[35:36] offset0:4 offset1:6
	ds_write_b64 v7, v[31:32] offset:64
	v_lshl_add_u32 v31, v11, 3, 0
	ds_write2_b64 v31, v[43:44], v[39:40] offset1:2
	ds_write2_b64 v31, v[54:55], v[25:26] offset0:4 offset1:6
	ds_write_b64 v31, v[13:14] offset:64
	s_waitcnt lgkmcnt(0)
	s_barrier
	ds_read2_b64 v[11:14], v3 offset0:43 offset1:218
	ds_read2_b64 v[15:18], v2 offset0:73 offset1:248
	ds_read_b64 v[64:65], v0
	ds_read_b64 v[72:73], v1
	ds_read_b64 v[84:85], v10
	ds_read_b64 v[86:87], v10 offset:4200
	ds_read_b64 v[66:67], v6
	ds_read_b64 v[88:89], v10 offset:12600
	s_waitcnt lgkmcnt(0)
	s_barrier
	ds_write2_b64 v7, v[19:20], v[58:59] offset1:2
	ds_write2_b64 v7, v[37:38], v[21:22] offset0:4 offset1:6
	ds_write_b64 v7, v[52:53] offset:64
	ds_write2_b64 v31, v[27:28], v[29:30] offset1:2
	ds_write2_b64 v31, v[41:42], v[23:24] offset0:4 offset1:6
	ds_write_b64 v31, v[45:46] offset:64
	v_mul_lo_u16_sdwa v7, v68, s0 dst_sel:DWORD dst_unused:UNUSED_PAD src0_sel:BYTE_0 src1_sel:DWORD
	v_lshrrev_b16_e32 v90, 11, v7
	v_mul_lo_u16_e32 v7, 10, v90
	v_sub_u16_e32 v91, v68, v7
	v_mov_b32_e32 v7, 6
	s_mov_b32 s0, 0xcccd
	v_lshlrev_b32_sdwa v7, v7, v91 dst_sel:DWORD dst_unused:UNUSED_PAD src0_sel:DWORD src1_sel:BYTE_0
	v_mul_u32_u24_sdwa v19, v69, s0 dst_sel:DWORD dst_unused:UNUSED_PAD src0_sel:WORD_0 src1_sel:DWORD
	s_waitcnt lgkmcnt(0)
	s_barrier
	v_lshrrev_b32_e32 v92, 19, v19
	global_load_dwordx4 v[19:22], v7, s[12:13] offset:160
	v_mul_lo_u16_e32 v23, 10, v92
	v_sub_u16_e32 v93, v69, v23
	v_lshlrev_b32_e32 v23, 6, v93
	global_load_dwordx4 v[24:27], v23, s[12:13] offset:144
	global_load_dwordx4 v[32:35], v7, s[12:13] offset:176
	;; [unrolled: 1-line block ×7, first 2 shown]
	ds_read2_b64 v[56:59], v3 offset0:43 offset1:218
	ds_read2_b64 v[60:63], v2 offset0:73 offset1:248
	s_movk_i32 s0, 0x4b
	v_cmp_gt_u32_e64 s[0:1], s0, v68
	ds_read_b64 v[2:3], v1
	ds_read_b64 v[6:7], v6
	;; [unrolled: 1-line block ×3, first 2 shown]
	s_waitcnt vmcnt(6) lgkmcnt(4)
	v_mul_f64 v[30:31], v[56:57], v[26:27]
	v_mul_f64 v[26:27], v[11:12], v[26:27]
	;; [unrolled: 1-line block ×4, first 2 shown]
	s_waitcnt vmcnt(5) lgkmcnt(3)
	v_mul_f64 v[36:37], v[62:63], v[34:35]
	v_fma_f64 v[28:29], v[13:14], v[19:20], -v[28:29]
	ds_read_b64 v[13:14], v0
	v_fma_f64 v[20:21], v[58:59], v[19:20], v[21:22]
	v_fma_f64 v[22:23], v[11:12], v[24:25], -v[30:31]
	v_fma_f64 v[0:1], v[56:57], v[24:25], v[26:27]
	v_mul_f64 v[24:25], v[17:18], v[34:35]
	s_waitcnt vmcnt(4) lgkmcnt(0)
	v_mul_f64 v[11:12], v[13:14], v[44:45]
	s_waitcnt vmcnt(2)
	v_mul_f64 v[34:35], v[6:7], v[54:55]
	v_fma_f64 v[30:31], v[17:18], v[32:33], -v[36:37]
	ds_read_b64 v[26:27], v10 offset:12600
	v_mul_f64 v[17:18], v[60:61], v[40:41]
	v_mul_f64 v[54:55], v[66:67], v[54:55]
	;; [unrolled: 1-line block ×4, first 2 shown]
	v_fma_f64 v[36:37], v[64:65], v[42:43], -v[11:12]
	ds_read_b64 v[11:12], v10 offset:4200
	v_fma_f64 v[66:67], v[66:67], v[52:53], -v[34:35]
	v_fma_f64 v[40:41], v[62:63], v[32:33], v[24:25]
	s_waitcnt vmcnt(0)
	v_mul_f64 v[32:33], v[88:89], v[82:83]
	v_fma_f64 v[62:63], v[6:7], v[52:53], v[54:55]
	s_waitcnt lgkmcnt(0)
	v_mul_f64 v[58:59], v[11:12], v[78:79]
	v_fma_f64 v[52:53], v[15:16], v[38:39], -v[17:18]
	v_add_f64 v[24:25], v[36:37], v[28:29]
	v_fma_f64 v[38:39], v[60:61], v[38:39], v[56:57]
	v_fma_f64 v[56:57], v[13:14], v[42:43], v[44:45]
	v_mul_f64 v[6:7], v[86:87], v[78:79]
	v_add_f64 v[13:14], v[84:85], v[66:67]
	v_add_f64 v[34:35], v[66:67], -v[36:37]
	v_fma_f64 v[60:61], v[86:87], v[76:77], -v[58:59]
	v_add_f64 v[58:59], v[66:67], v[30:31]
	v_fma_f64 v[15:16], v[24:25], -0.5, v[84:85]
	v_mul_f64 v[24:25], v[26:27], v[82:83]
	v_add_f64 v[54:55], v[30:31], -v[28:29]
	v_fma_f64 v[44:45], v[11:12], v[76:77], v[6:7]
	v_add_f64 v[6:7], v[13:14], v[36:37]
	v_add_f64 v[13:14], v[56:57], -v[20:21]
	v_fma_f64 v[42:43], v[26:27], v[80:81], v[32:33]
	v_fma_f64 v[26:27], v[58:59], -0.5, v[84:85]
	v_mov_b32_e32 v32, 3
	v_add_f64 v[17:18], v[62:63], -v[40:41]
	v_fma_f64 v[64:65], v[88:89], v[80:81], -v[24:25]
	v_add_f64 v[24:25], v[34:35], v[54:55]
	v_lshlrev_b32_sdwa v58, v32, v91 dst_sel:DWORD dst_unused:UNUSED_PAD src0_sel:DWORD src1_sel:BYTE_0
	v_add_f64 v[32:33], v[36:37], -v[66:67]
	v_add_f64 v[34:35], v[28:29], -v[30:31]
	v_fma_f64 v[54:55], v[13:14], s[16:17], v[26:27]
	v_fma_f64 v[26:27], v[13:14], s[6:7], v[26:27]
	v_mul_u32_u24_e32 v19, 0x190, v90
	v_add3_u32 v76, 0, v19, v58
	v_add_f64 v[58:59], v[22:23], v[52:53]
	v_fma_f64 v[11:12], v[17:18], s[6:7], v[15:16]
	v_fma_f64 v[15:16], v[17:18], s[16:17], v[15:16]
	v_add_f64 v[32:33], v[32:33], v[34:35]
	v_fma_f64 v[34:35], v[17:18], s[8:9], v[54:55]
	v_fma_f64 v[26:27], v[17:18], s[14:15], v[26:27]
	v_add_f64 v[54:55], v[60:61], v[64:65]
	v_add_f64 v[6:7], v[6:7], v[28:29]
	v_fma_f64 v[17:18], v[58:59], -0.5, v[72:73]
	v_add_f64 v[58:59], v[44:45], -v[42:43]
	v_fma_f64 v[11:12], v[13:14], s[8:9], v[11:12]
	v_add_f64 v[77:78], v[60:61], -v[22:23]
	v_fma_f64 v[34:35], v[32:33], s[18:19], v[34:35]
	v_fma_f64 v[26:27], v[32:33], s[18:19], v[26:27]
	v_fma_f64 v[32:33], v[54:55], -0.5, v[72:73]
	v_add_f64 v[72:73], v[72:73], v[60:61]
	v_add_f64 v[54:55], v[0:1], -v[38:39]
	v_add_f64 v[79:80], v[64:65], -v[52:53]
	v_fma_f64 v[81:82], v[58:59], s[6:7], v[17:18]
	v_fma_f64 v[17:18], v[58:59], s[16:17], v[17:18]
	v_add_f64 v[83:84], v[22:23], -v[60:61]
	v_add_f64 v[85:86], v[52:53], -v[64:65]
	v_add_f64 v[6:7], v[6:7], v[30:31]
	v_add_f64 v[72:73], v[72:73], v[22:23]
	v_fma_f64 v[87:88], v[54:55], s[6:7], v[32:33]
	v_fma_f64 v[32:33], v[54:55], s[16:17], v[32:33]
	;; [unrolled: 1-line block ×4, first 2 shown]
	v_add_f64 v[15:16], v[77:78], v[79:80]
	v_fma_f64 v[77:78], v[54:55], s[8:9], v[81:82]
	v_fma_f64 v[17:18], v[54:55], s[14:15], v[17:18]
	v_add_f64 v[72:73], v[72:73], v[52:53]
	v_add_f64 v[54:55], v[83:84], v[85:86]
	v_fma_f64 v[79:80], v[58:59], s[14:15], v[87:88]
	v_fma_f64 v[32:33], v[58:59], s[8:9], v[32:33]
	s_barrier
	v_fma_f64 v[24:25], v[24:25], s[18:19], v[13:14]
	ds_write2_b64 v76, v[6:7], v[11:12] offset1:10
	ds_write2_b64 v76, v[34:35], v[26:27] offset0:20 offset1:30
	v_fma_f64 v[6:7], v[15:16], s[18:19], v[77:78]
	v_fma_f64 v[14:15], v[15:16], s[18:19], v[17:18]
	v_add_f64 v[16:17], v[72:73], v[64:65]
	v_fma_f64 v[12:13], v[54:55], s[18:19], v[79:80]
	v_fma_f64 v[54:55], v[54:55], s[18:19], v[32:33]
	v_sub_u32_e32 v11, 0, v4
	v_sub_u32_e32 v18, 0, v5
	v_mul_u32_u24_e32 v4, 0x190, v92
	v_lshlrev_b32_e32 v5, 3, v93
	v_add3_u32 v77, 0, v4, v5
	ds_write_b64 v76, v[24:25] offset:320
	ds_write2_b64 v77, v[16:17], v[6:7] offset1:10
	ds_write2_b64 v77, v[54:55], v[12:13] offset0:20 offset1:30
	ds_write_b64 v77, v[14:15] offset:320
	s_waitcnt lgkmcnt(0)
	s_barrier
	ds_read2_b64 v[4:7], v10 offset1:250
	v_add_u32_e32 v16, 0xf80, v10
	v_add_u32_e32 v17, 0x1f40, v10
	ds_read_b64 v[58:59], v10 offset:12000
	ds_read2_b64 v[32:35], v16 offset0:4 offset1:254
	ds_read2_b64 v[24:27], v17 offset1:250
	v_add_u32_e32 v73, v9, v18
	v_add_u32_e32 v72, v8, v11
                                        ; implicit-def: $vgpr10_vgpr11
                                        ; implicit-def: $vgpr18_vgpr19
	s_and_saveexec_b64 s[20:21], s[0:1]
	s_cbranch_execz .LBB0_15
; %bb.14:
	v_add_u32_e32 v8, 0xd40, v72
	ds_read2_b64 v[12:15], v8 offset0:1 offset1:251
	v_add_u32_e32 v8, 0x1cc0, v72
	ds_read2_b64 v[16:19], v8 offset0:5 offset1:255
	v_add_u32_e32 v8, 0x2c80, v72
	ds_read_b64 v[54:55], v73
	ds_read2_b64 v[8:11], v8 offset0:1 offset1:251
.LBB0_15:
	s_or_b64 exec, exec, s[20:21]
	v_add_f64 v[78:79], v[56:57], v[20:21]
	v_add_f64 v[80:81], v[46:47], v[62:63]
	v_add_f64 v[30:31], v[66:67], -v[30:31]
	v_add_f64 v[82:83], v[62:63], v[40:41]
	v_add_f64 v[28:29], v[36:37], -v[28:29]
	v_add_f64 v[36:37], v[62:63], -v[56:57]
	;; [unrolled: 1-line block ×4, first 2 shown]
	v_fma_f64 v[78:79], v[78:79], -0.5, v[46:47]
	v_add_f64 v[88:89], v[0:1], v[38:39]
	v_add_f64 v[56:57], v[80:81], v[56:57]
	v_add_f64 v[22:23], v[22:23], -v[52:53]
	v_fma_f64 v[46:47], v[82:83], -0.5, v[46:47]
	v_add_f64 v[60:61], v[60:61], -v[64:65]
	v_add_f64 v[64:65], v[44:45], v[42:43]
	v_add_f64 v[84:85], v[20:21], -v[40:41]
	v_fma_f64 v[52:53], v[30:31], s[16:17], v[78:79]
	v_add_f64 v[86:87], v[2:3], v[44:45]
	v_add_f64 v[36:37], v[36:37], v[66:67]
	v_fma_f64 v[66:67], v[88:89], -0.5, v[2:3]
	v_add_f64 v[20:21], v[56:57], v[20:21]
	v_fma_f64 v[56:57], v[30:31], s[6:7], v[78:79]
	v_fma_f64 v[78:79], v[28:29], s[6:7], v[46:47]
	v_fma_f64 v[2:3], v[64:65], -0.5, v[2:3]
	v_fma_f64 v[52:53], v[28:29], s[14:15], v[52:53]
	v_fma_f64 v[46:47], v[28:29], s[16:17], v[46:47]
	v_add_f64 v[80:81], v[86:87], v[0:1]
	v_fma_f64 v[64:65], v[60:61], s[16:17], v[66:67]
	v_add_f64 v[20:21], v[20:21], v[40:41]
	v_fma_f64 v[28:29], v[28:29], s[8:9], v[56:57]
	v_fma_f64 v[40:41], v[30:31], s[14:15], v[78:79]
	v_add_f64 v[78:79], v[42:43], -v[38:39]
	v_fma_f64 v[56:57], v[36:37], s[18:19], v[52:53]
	v_add_f64 v[52:53], v[44:45], -v[0:1]
	v_fma_f64 v[66:67], v[60:61], s[6:7], v[66:67]
	v_fma_f64 v[82:83], v[22:23], s[6:7], v[2:3]
	v_add_f64 v[0:1], v[0:1], -v[44:45]
	v_add_f64 v[44:45], v[38:39], -v[42:43]
	v_fma_f64 v[2:3], v[22:23], s[16:17], v[2:3]
	v_add_f64 v[62:63], v[62:63], v[84:85]
	v_fma_f64 v[30:31], v[30:31], s[8:9], v[46:47]
	v_add_f64 v[38:39], v[80:81], v[38:39]
	;; [unrolled: 2-line block ×3, first 2 shown]
	v_fma_f64 v[22:23], v[22:23], s[8:9], v[66:67]
	v_fma_f64 v[64:65], v[60:61], s[14:15], v[82:83]
	v_add_f64 v[0:1], v[0:1], v[44:45]
	v_fma_f64 v[2:3], v[60:61], s[8:9], v[2:3]
	v_fma_f64 v[40:41], v[62:63], s[18:19], v[40:41]
	v_fma_f64 v[44:45], v[62:63], s[18:19], v[30:31]
	v_fma_f64 v[36:37], v[36:37], s[18:19], v[28:29]
	v_add_f64 v[38:39], v[38:39], v[42:43]
	v_fma_f64 v[42:43], v[52:53], s[18:19], v[46:47]
	v_fma_f64 v[30:31], v[52:53], s[18:19], v[22:23]
	;; [unrolled: 1-line block ×4, first 2 shown]
	s_waitcnt lgkmcnt(0)
	s_barrier
	ds_write2_b64 v76, v[20:21], v[56:57] offset1:10
	ds_write2_b64 v76, v[40:41], v[44:45] offset0:20 offset1:30
	ds_write_b64 v76, v[36:37] offset:320
	ds_write2_b64 v77, v[38:39], v[42:43] offset1:10
	ds_write2_b64 v77, v[52:53], v[28:29] offset0:20 offset1:30
	ds_write_b64 v77, v[30:31] offset:320
	v_add_u32_e32 v20, 0xf80, v72
	s_waitcnt lgkmcnt(0)
	s_barrier
	ds_read2_b64 v[44:47], v20 offset0:4 offset1:254
	v_add_u32_e32 v20, 0x1f40, v72
	ds_read2_b64 v[0:3], v72 offset1:250
	ds_read2_b64 v[40:43], v20 offset1:250
	ds_read_b64 v[60:61], v72 offset:12000
                                        ; implicit-def: $vgpr22_vgpr23
                                        ; implicit-def: $vgpr38_vgpr39
	s_and_saveexec_b64 s[6:7], s[0:1]
	s_cbranch_execz .LBB0_17
; %bb.16:
	v_add_u32_e32 v20, 0xd40, v72
	ds_read2_b64 v[28:31], v20 offset0:1 offset1:251
	v_add_u32_e32 v20, 0x1cc0, v72
	ds_read2_b64 v[36:39], v20 offset0:5 offset1:255
	v_add_u32_e32 v20, 0x2c80, v72
	ds_read_b64 v[52:53], v73
	ds_read2_b64 v[20:23], v20 offset0:1 offset1:251
.LBB0_17:
	s_or_b64 exec, exec, s[6:7]
	v_mov_b32_e32 v66, 41
	v_mul_lo_u16_sdwa v56, v68, v66 dst_sel:DWORD dst_unused:UNUSED_PAD src0_sel:BYTE_0 src1_sel:DWORD
	v_lshrrev_b16_e32 v90, 11, v56
	v_mul_lo_u16_e32 v56, 50, v90
	v_sub_u16_e32 v91, v68, v56
	v_mov_b32_e32 v56, 6
	v_mul_u32_u24_sdwa v56, v91, v56 dst_sel:DWORD dst_unused:UNUSED_PAD src0_sel:BYTE_0 src1_sel:DWORD
	v_lshlrev_b32_e32 v62, 4, v56
	v_sub_u32_e32 v65, 0, v74
	v_sub_u32_e32 v64, 0, v75
	global_load_dwordx4 v[74:77], v62, s[12:13] offset:816
	global_load_dwordx4 v[78:81], v62, s[12:13] offset:800
	;; [unrolled: 1-line block ×4, first 2 shown]
	s_mov_b32 s6, 0x37e14327
	s_mov_b32 s8, 0x36b3c0b5
	;; [unrolled: 1-line block ×20, first 2 shown]
	s_waitcnt vmcnt(0) lgkmcnt(2)
	v_mul_f64 v[56:57], v[2:3], v[88:89]
	v_fma_f64 v[56:57], v[6:7], v[86:87], -v[56:57]
	v_mul_f64 v[6:7], v[6:7], v[88:89]
	v_fma_f64 v[6:7], v[2:3], v[86:87], v[6:7]
	v_mul_f64 v[2:3], v[44:45], v[84:85]
	v_fma_f64 v[2:3], v[32:33], v[82:83], -v[2:3]
	v_mul_f64 v[32:33], v[32:33], v[84:85]
	v_fma_f64 v[44:45], v[44:45], v[82:83], v[32:33]
	;; [unrolled: 4-line block ×3, first 2 shown]
	s_waitcnt lgkmcnt(1)
	v_mul_f64 v[46:47], v[40:41], v[76:77]
	v_fma_f64 v[46:47], v[24:25], v[74:75], -v[46:47]
	v_mul_f64 v[24:25], v[24:25], v[76:77]
	v_fma_f64 v[24:25], v[40:41], v[74:75], v[24:25]
	global_load_dwordx4 v[74:77], v62, s[12:13] offset:848
	global_load_dwordx4 v[78:81], v62, s[12:13] offset:832
	s_waitcnt vmcnt(0)
	v_mul_f64 v[40:41], v[42:43], v[80:81]
	v_fma_f64 v[40:41], v[26:27], v[78:79], -v[40:41]
	v_mul_f64 v[26:27], v[26:27], v[80:81]
	v_fma_f64 v[42:43], v[42:43], v[78:79], v[26:27]
	s_waitcnt lgkmcnt(0)
	v_mul_f64 v[26:27], v[60:61], v[76:77]
	v_fma_f64 v[26:27], v[58:59], v[74:75], -v[26:27]
	v_mul_f64 v[58:59], v[58:59], v[76:77]
	v_fma_f64 v[58:59], v[60:61], v[74:75], v[58:59]
	v_lshrrev_b16_e32 v60, 1, v69
	v_mul_u32_u24_e32 v60, 0x147b, v60
	v_lshrrev_b32_e32 v60, 17, v60
	v_mul_lo_u16_e32 v60, 50, v60
	v_sub_u16_e32 v67, v69, v60
	v_mul_u32_u24_e32 v60, 6, v67
	v_lshlrev_b32_e32 v62, 4, v60
	global_load_dwordx4 v[74:77], v62, s[12:13] offset:816
	global_load_dwordx4 v[78:81], v62, s[12:13] offset:800
	;; [unrolled: 1-line block ×4, first 2 shown]
	v_lshlrev_b32_e32 v67, 3, v67
	s_waitcnt vmcnt(0)
	v_mul_f64 v[60:61], v[28:29], v[88:89]
	v_fma_f64 v[60:61], v[12:13], v[86:87], -v[60:61]
	v_mul_f64 v[12:13], v[12:13], v[88:89]
	v_fma_f64 v[28:29], v[28:29], v[86:87], v[12:13]
	v_mul_f64 v[12:13], v[30:31], v[84:85]
	v_fma_f64 v[12:13], v[14:15], v[82:83], -v[12:13]
	v_mul_f64 v[14:15], v[14:15], v[84:85]
	v_fma_f64 v[30:31], v[30:31], v[82:83], v[14:15]
	;; [unrolled: 4-line block ×4, first 2 shown]
	global_load_dwordx4 v[74:77], v62, s[12:13] offset:848
	global_load_dwordx4 v[78:81], v62, s[12:13] offset:832
	s_waitcnt vmcnt(0)
	s_barrier
	v_mul_f64 v[38:39], v[20:21], v[80:81]
	v_fma_f64 v[38:39], v[8:9], v[78:79], -v[38:39]
	v_mul_f64 v[8:9], v[8:9], v[80:81]
	v_add_f64 v[80:81], v[24:25], -v[34:35]
	v_fma_f64 v[20:21], v[20:21], v[78:79], v[8:9]
	v_mul_f64 v[8:9], v[22:23], v[76:77]
	v_add_f64 v[78:79], v[32:33], v[46:47]
	v_fma_f64 v[62:63], v[10:11], v[74:75], -v[8:9]
	v_mul_f64 v[8:9], v[10:11], v[76:77]
	v_add_f64 v[76:77], v[44:45], -v[42:43]
	v_fma_f64 v[10:11], v[22:23], v[74:75], v[8:9]
	v_add_f64 v[8:9], v[56:57], v[26:27]
	v_add_f64 v[74:75], v[2:3], v[40:41]
	v_add_f64 v[22:23], v[6:7], -v[58:59]
	v_add_f64 v[86:87], v[80:81], v[76:77]
	v_add_f64 v[88:89], v[80:81], -v[76:77]
	;; [unrolled: 2-line block ×3, first 2 shown]
	v_add_f64 v[8:9], v[8:9], -v[78:79]
	v_add_f64 v[74:75], v[78:79], -v[74:75]
	v_add_f64 v[76:77], v[76:77], -v[22:23]
	v_add_f64 v[80:81], v[22:23], -v[80:81]
	v_add_f64 v[22:23], v[86:87], v[22:23]
	v_mul_f64 v[86:87], v[88:89], s[16:17]
	v_add_f64 v[78:79], v[78:79], v[82:83]
	v_mul_f64 v[8:9], v[8:9], s[6:7]
	v_mul_f64 v[82:83], v[74:75], s[8:9]
	;; [unrolled: 1-line block ×3, first 2 shown]
	v_fma_f64 v[76:77], v[76:77], s[14:15], -v[86:87]
	v_add_f64 v[4:5], v[4:5], v[78:79]
	v_fma_f64 v[74:75], v[74:75], s[8:9], v[8:9]
	v_fma_f64 v[82:83], v[84:85], s[20:21], -v[82:83]
	v_fma_f64 v[8:9], v[84:85], s[22:23], -v[8:9]
	v_fma_f64 v[84:85], v[80:81], s[24:25], v[86:87]
	v_fma_f64 v[80:81], v[80:81], s[26:27], -v[88:89]
	v_fma_f64 v[76:77], v[22:23], s[28:29], v[76:77]
	v_fma_f64 v[78:79], v[78:79], s[18:19], v[4:5]
	v_add_f64 v[74:75], v[74:75], v[78:79]
	v_add_f64 v[82:83], v[82:83], v[78:79]
	;; [unrolled: 1-line block ×3, first 2 shown]
	v_fma_f64 v[78:79], v[22:23], s[28:29], v[84:85]
	v_fma_f64 v[22:23], v[22:23], s[28:29], v[80:81]
	v_add_f64 v[86:87], v[82:83], -v[76:77]
	v_add_f64 v[76:77], v[76:77], v[82:83]
	v_add_f64 v[80:81], v[78:79], v[74:75]
	;; [unrolled: 1-line block ×3, first 2 shown]
	v_add_f64 v[8:9], v[8:9], -v[22:23]
	v_add_f64 v[22:23], v[74:75], -v[78:79]
	v_mov_b32_e32 v75, 3
	v_mul_u32_u24_e32 v74, 0xaf0, v90
	v_lshlrev_b32_sdwa v75, v75, v91 dst_sel:DWORD dst_unused:UNUSED_PAD src0_sel:DWORD src1_sel:BYTE_0
	v_add3_u32 v74, 0, v74, v75
	ds_write2_b64 v74, v[4:5], v[80:81] offset1:50
	ds_write2_b64 v74, v[84:85], v[86:87] offset0:100 offset1:150
	ds_write2_b64 v74, v[76:77], v[8:9] offset0:200 offset1:250
	ds_write_b64 v74, v[22:23] offset:2400
	s_and_saveexec_b64 s[30:31], s[0:1]
	s_cbranch_execz .LBB0_19
; %bb.18:
	v_add_f64 v[4:5], v[12:13], v[38:39]
	v_add_f64 v[8:9], v[60:61], v[62:63]
	v_add_f64 v[22:23], v[18:19], -v[16:17]
	v_add_f64 v[75:76], v[30:31], -v[20:21]
	v_add_f64 v[77:78], v[14:15], v[36:37]
	v_add_f64 v[79:80], v[28:29], -v[10:11]
	v_mul_lo_u16_sdwa v66, v69, v66 dst_sel:DWORD dst_unused:UNUSED_PAD src0_sel:BYTE_0 src1_sel:DWORD
	v_lshrrev_b16_e32 v66, 11, v66
	v_mul_u32_u24_e32 v66, 0xaf0, v66
	v_add_f64 v[81:82], v[4:5], v[8:9]
	v_add3_u32 v66, 0, v66, v67
	v_add_f64 v[83:84], v[22:23], -v[75:76]
	v_add_f64 v[85:86], v[8:9], -v[77:78]
	;; [unrolled: 1-line block ×4, first 2 shown]
	v_add_f64 v[75:76], v[22:23], v[75:76]
	v_add_f64 v[22:23], v[79:80], -v[22:23]
	v_add_f64 v[77:78], v[77:78], v[81:82]
	v_add_f64 v[4:5], v[4:5], -v[8:9]
	v_mul_f64 v[8:9], v[83:84], s[16:17]
	v_mul_f64 v[81:82], v[85:86], s[6:7]
	;; [unrolled: 1-line block ×4, first 2 shown]
	v_add_f64 v[75:76], v[75:76], v[79:80]
	v_add_f64 v[54:55], v[54:55], v[77:78]
	v_fma_f64 v[79:80], v[22:23], s[24:25], v[8:9]
	v_fma_f64 v[91:92], v[4:5], s[22:23], -v[81:82]
	v_fma_f64 v[22:23], v[22:23], s[26:27], -v[83:84]
	;; [unrolled: 1-line block ×4, first 2 shown]
	v_fma_f64 v[81:82], v[89:90], s[8:9], v[81:82]
	v_fma_f64 v[77:78], v[77:78], s[18:19], v[54:55]
	;; [unrolled: 1-line block ×5, first 2 shown]
	v_add_f64 v[75:76], v[91:92], v[77:78]
	v_add_f64 v[4:5], v[4:5], v[77:78]
	;; [unrolled: 1-line block ×3, first 2 shown]
	v_add_f64 v[81:82], v[75:76], -v[22:23]
	v_add_f64 v[83:84], v[4:5], -v[8:9]
	v_add_f64 v[85:86], v[79:80], v[77:78]
	v_add_f64 v[22:23], v[22:23], v[75:76]
	;; [unrolled: 1-line block ×3, first 2 shown]
	v_add_f64 v[8:9], v[77:78], -v[79:80]
	ds_write2_b64 v66, v[54:55], v[85:86] offset1:50
	ds_write2_b64 v66, v[22:23], v[83:84] offset0:100 offset1:150
	ds_write2_b64 v66, v[4:5], v[81:82] offset0:200 offset1:250
	ds_write_b64 v66, v[8:9] offset:2400
.LBB0_19:
	s_or_b64 exec, exec, s[30:31]
	v_add_f64 v[4:5], v[6:7], v[58:59]
	v_add_f64 v[6:7], v[44:45], v[42:43]
	v_add_f64 v[2:3], v[2:3], -v[40:41]
	v_add_f64 v[8:9], v[34:35], v[24:25]
	v_add_f64 v[22:23], v[46:47], -v[32:33]
	v_add_f64 v[24:25], v[56:57], -v[26:27]
	s_waitcnt lgkmcnt(0)
	s_barrier
	v_add_f64 v[26:27], v[6:7], v[4:5]
	v_add_f64 v[32:33], v[4:5], -v[8:9]
	v_add_f64 v[34:35], v[22:23], -v[2:3]
	;; [unrolled: 1-line block ×3, first 2 shown]
	v_add_f64 v[2:3], v[22:23], v[2:3]
	v_add_f64 v[22:23], v[24:25], -v[22:23]
	v_add_f64 v[26:27], v[8:9], v[26:27]
	v_add_f64 v[8:9], v[8:9], -v[6:7]
	v_mul_f64 v[32:33], v[32:33], s[6:7]
	v_mul_f64 v[34:35], v[34:35], s[16:17]
	;; [unrolled: 1-line block ×3, first 2 shown]
	v_add_f64 v[2:3], v[2:3], v[24:25]
	v_add_f64 v[44:45], v[0:1], v[26:27]
	v_add_f64 v[0:1], v[6:7], -v[4:5]
	v_mul_f64 v[4:5], v[8:9], s[8:9]
	v_fma_f64 v[6:7], v[8:9], s[8:9], v[32:33]
	v_fma_f64 v[8:9], v[22:23], s[24:25], v[34:35]
	v_fma_f64 v[24:25], v[40:41], s[14:15], -v[34:35]
	v_fma_f64 v[22:23], v[22:23], s[26:27], -v[42:43]
	v_add_u32_e32 v40, v70, v65
	v_fma_f64 v[26:27], v[26:27], s[18:19], v[44:45]
	v_fma_f64 v[32:33], v[0:1], s[22:23], -v[32:33]
	v_fma_f64 v[0:1], v[0:1], s[20:21], -v[4:5]
	v_add_u32_e32 v41, v71, v64
	v_fma_f64 v[4:5], v[2:3], s[28:29], v[8:9]
	v_fma_f64 v[8:9], v[2:3], s[28:29], v[24:25]
	;; [unrolled: 1-line block ×3, first 2 shown]
	v_add_f64 v[6:7], v[6:7], v[26:27]
	v_add_f64 v[32:33], v[32:33], v[26:27]
	;; [unrolled: 1-line block ×3, first 2 shown]
	v_add_u32_e32 v0, 0x1a00, v72
	ds_read_b64 v[22:23], v40
	ds_read_b64 v[24:25], v41
	ds_read2_b64 v[0:3], v0 offset0:43 offset1:218
	v_add_f64 v[42:43], v[6:7], -v[4:5]
	v_add_f64 v[64:65], v[4:5], v[6:7]
	v_add_u32_e32 v4, 0x2400, v72
	v_add_f64 v[46:47], v[32:33], -v[34:35]
	v_add_f64 v[54:55], v[8:9], v[26:27]
	v_add_f64 v[56:57], v[26:27], -v[8:9]
	v_add_f64 v[58:59], v[34:35], v[32:33]
	ds_read2_b64 v[4:7], v4 offset0:73 offset1:248
	ds_read_b64 v[8:9], v72
	ds_read_b64 v[26:27], v73
	ds_read_b64 v[32:33], v72 offset:4200
	ds_read_b64 v[34:35], v72 offset:12600
	s_waitcnt lgkmcnt(0)
	s_barrier
	ds_write2_b64 v74, v[44:45], v[42:43] offset1:50
	ds_write2_b64 v74, v[46:47], v[54:55] offset0:100 offset1:150
	ds_write2_b64 v74, v[56:57], v[58:59] offset0:200 offset1:250
	ds_write_b64 v74, v[64:65] offset:2400
	s_and_saveexec_b64 s[6:7], s[0:1]
	s_cbranch_execz .LBB0_21
; %bb.20:
	v_add_f64 v[10:11], v[28:29], v[10:11]
	v_add_f64 v[20:21], v[30:31], v[20:21]
	;; [unrolled: 1-line block ×3, first 2 shown]
	v_add_f64 v[12:13], v[12:13], -v[38:39]
	v_add_f64 v[14:15], v[36:37], -v[14:15]
	v_add_f64 v[28:29], v[60:61], -v[62:63]
	s_mov_b32 s0, 0x37e14327
	s_mov_b32 s1, 0x3fe948f6
	s_mov_b32 s14, 0xe976ee23
	v_add_f64 v[18:19], v[20:21], v[10:11]
	v_add_f64 v[30:31], v[10:11], -v[16:17]
	v_add_f64 v[10:11], v[20:21], -v[10:11]
	v_add_f64 v[36:37], v[14:15], v[12:13]
	v_add_f64 v[38:39], v[14:15], -v[12:13]
	v_add_f64 v[12:13], v[12:13], -v[28:29]
	s_mov_b32 s15, 0xbfe11646
	s_mov_b32 s16, 0x429ad128
	v_add_f64 v[18:19], v[16:17], v[18:19]
	v_add_f64 v[16:17], v[16:17], -v[20:21]
	v_mul_f64 v[30:31], v[30:31], s[0:1]
	s_mov_b32 s17, 0x3febfeb5
	v_add_f64 v[14:15], v[28:29], -v[14:15]
	v_add_f64 v[28:29], v[36:37], v[28:29]
	v_mul_f64 v[36:37], v[38:39], s[14:15]
	v_mul_f64 v[38:39], v[12:13], s[16:17]
	v_add_f64 v[42:43], v[52:53], v[18:19]
	v_mul_f64 v[20:21], v[16:17], s[8:9]
	s_mov_b32 s1, 0x3fe77f67
	s_mov_b32 s0, 0x5476071b
	v_fma_f64 v[16:17], v[16:17], s[8:9], v[30:31]
	v_fma_f64 v[12:13], v[12:13], s[16:17], -v[36:37]
	v_fma_f64 v[18:19], v[18:19], s[18:19], v[42:43]
	v_fma_f64 v[20:21], v[10:11], s[0:1], -v[20:21]
	s_mov_b32 s1, 0xbfe77f67
	v_fma_f64 v[10:11], v[10:11], s[0:1], -v[30:31]
	s_mov_b32 s1, 0x3fd5d0dc
	s_mov_b32 s0, 0xb247c609
	v_fma_f64 v[30:31], v[14:15], s[0:1], v[36:37]
	s_mov_b32 s1, 0xbfd5d0dc
	v_fma_f64 v[14:15], v[14:15], s[0:1], -v[38:39]
	s_mov_b32 s0, 0x37c3f68c
	s_mov_b32 s1, 0x3fdc38aa
	v_add_f64 v[16:17], v[16:17], v[18:19]
	v_add_f64 v[20:21], v[20:21], v[18:19]
	;; [unrolled: 1-line block ×3, first 2 shown]
	v_fma_f64 v[18:19], v[28:29], s[0:1], v[30:31]
	v_fma_f64 v[12:13], v[28:29], s[0:1], v[12:13]
	;; [unrolled: 1-line block ×3, first 2 shown]
	v_add_f64 v[28:29], v[16:17], -v[18:19]
	v_add_f64 v[36:37], v[12:13], v[20:21]
	v_add_f64 v[30:31], v[10:11], -v[14:15]
	v_add_f64 v[12:13], v[20:21], -v[12:13]
	v_add_f64 v[10:11], v[14:15], v[10:11]
	v_add_f64 v[14:15], v[18:19], v[16:17]
	v_mov_b32_e32 v16, 41
	v_mul_lo_u16_sdwa v16, v69, v16 dst_sel:DWORD dst_unused:UNUSED_PAD src0_sel:BYTE_0 src1_sel:DWORD
	v_lshrrev_b16_e32 v16, 11, v16
	v_mul_u32_u24_e32 v16, 0xaf0, v16
	v_add3_u32 v16, 0, v16, v67
	ds_write2_b64 v16, v[42:43], v[28:29] offset1:50
	ds_write2_b64 v16, v[30:31], v[36:37] offset0:100 offset1:150
	ds_write2_b64 v16, v[12:13], v[10:11] offset0:200 offset1:250
	ds_write_b64 v16, v[14:15] offset:2400
.LBB0_21:
	s_or_b64 exec, exec, s[6:7]
	s_waitcnt lgkmcnt(0)
	s_barrier
	s_and_saveexec_b64 s[0:1], vcc
	s_cbranch_execz .LBB0_23
; %bb.22:
	v_lshlrev_b32_e32 v18, 2, v69
	v_mov_b32_e32 v19, 0
	v_lshlrev_b64 v[10:11], 4, v[18:19]
	v_mov_b32_e32 v20, s13
	v_add_co_u32_e32 v10, vcc, s12, v10
	v_addc_co_u32_e32 v44, vcc, v20, v11, vcc
	s_movk_i32 s6, 0x15c0
	v_add_co_u32_e32 v46, vcc, s6, v10
	v_addc_co_u32_e32 v47, vcc, 0, v44, vcc
	s_movk_i32 s7, 0x1000
	v_add_co_u32_e32 v60, vcc, s7, v10
	global_load_dwordx4 v[10:13], v[46:47], off offset:32
	global_load_dwordx4 v[14:17], v[46:47], off offset:16
	v_lshlrev_b32_e32 v18, 2, v68
	v_lshlrev_b64 v[18:19], 4, v[18:19]
	v_addc_co_u32_e32 v61, vcc, 0, v44, vcc
	v_add_co_u32_e64 v18, s[0:1], s12, v18
	v_addc_co_u32_e64 v19, s[0:1], v20, v19, s[0:1]
	v_add_co_u32_e64 v62, s[0:1], s6, v18
	v_addc_co_u32_e64 v63, s[0:1], 0, v19, s[0:1]
	;; [unrolled: 2-line block ×3, first 2 shown]
	global_load_dwordx4 v[18:21], v[42:43], off offset:1472
	global_load_dwordx4 v[28:31], v[62:63], off offset:32
	;; [unrolled: 1-line block ×3, first 2 shown]
	s_nop 0
	global_load_dwordx4 v[42:45], v[60:61], off offset:1472
	global_load_dwordx4 v[52:55], v[46:47], off offset:48
	;; [unrolled: 1-line block ×3, first 2 shown]
	v_add_u32_e32 v60, 0x1a00, v72
	v_add_u32_e32 v64, 0x2400, v72
	ds_read_b64 v[46:47], v72 offset:12600
	ds_read_b64 v[69:70], v73
	ds_read_b64 v[73:74], v41
	ds_read_b64 v[75:76], v40
	ds_read_b64 v[40:41], v72 offset:4200
	ds_read_b64 v[71:72], v72
	ds_read2_b64 v[60:63], v60 offset0:43 offset1:218
	ds_read2_b64 v[64:67], v64 offset0:73 offset1:248
	v_mul_lo_u32 v77, s5, v50
	v_mul_lo_u32 v78, s4, v51
	v_mad_u64_u32 v[50:51], s[0:1], s4, v50, 0
	s_mov_b32 s8, 0x134454ff
	s_mov_b32 s9, 0xbfee6f0e
	v_add3_u32 v51, v51, v78, v77
	s_mov_b32 s13, 0x3fee6f0e
	s_mov_b32 s12, s8
	;; [unrolled: 1-line block ×8, first 2 shown]
	s_waitcnt vmcnt(7)
	v_mul_f64 v[79:80], v[4:5], v[12:13]
	s_waitcnt vmcnt(6)
	v_mul_f64 v[77:78], v[0:1], v[16:17]
	s_waitcnt lgkmcnt(0)
	v_mul_f64 v[12:13], v[64:65], v[12:13]
	v_mul_f64 v[16:17], v[60:61], v[16:17]
	v_fma_f64 v[60:61], v[60:61], v[14:15], v[77:78]
	v_fma_f64 v[77:78], v[4:5], v[10:11], -v[12:13]
	v_fma_f64 v[4:5], v[64:65], v[10:11], v[79:80]
	v_fma_f64 v[0:1], v[0:1], v[14:15], -v[16:17]
	s_waitcnt vmcnt(5)
	v_mul_f64 v[83:84], v[22:23], v[20:21]
	s_waitcnt vmcnt(2)
	v_mul_f64 v[87:88], v[32:33], v[44:45]
	;; [unrolled: 2-line block ×3, first 2 shown]
	v_mul_f64 v[44:45], v[40:41], v[44:45]
	v_mul_f64 v[54:55], v[46:47], v[54:55]
	v_add_f64 v[16:17], v[0:1], -v[77:78]
	s_waitcnt vmcnt(0)
	v_mul_f64 v[10:11], v[6:7], v[58:59]
	v_mul_f64 v[81:82], v[24:25], v[38:39]
	;; [unrolled: 1-line block ×3, first 2 shown]
	v_fma_f64 v[12:13], v[40:41], v[42:43], v[87:88]
	v_fma_f64 v[14:15], v[46:47], v[52:53], v[89:90]
	v_fma_f64 v[44:45], v[32:33], v[42:43], -v[44:45]
	v_fma_f64 v[46:47], v[34:35], v[52:53], -v[54:55]
	v_add_f64 v[32:33], v[60:61], v[4:5]
	v_fma_f64 v[52:53], v[75:76], v[18:19], v[83:84]
	v_add_f64 v[54:55], v[60:61], -v[4:5]
	v_add_f64 v[34:35], v[0:1], v[77:78]
	v_add_f64 v[40:41], v[60:61], -v[12:13]
	v_add_f64 v[42:43], v[4:5], -v[14:15]
	v_add_f64 v[79:80], v[12:13], v[14:15]
	v_add_f64 v[64:65], v[44:45], -v[46:47]
	v_add_f64 v[89:90], v[12:13], v[69:70]
	v_add_f64 v[95:96], v[44:45], v[46:47]
	v_fma_f64 v[32:33], v[32:33], -0.5, v[69:70]
	v_add_f64 v[83:84], v[12:13], -v[60:61]
	v_add_f64 v[87:88], v[14:15], -v[4:5]
	;; [unrolled: 1-line block ×4, first 2 shown]
	v_add_f64 v[40:41], v[40:41], v[42:43]
	v_fma_f64 v[42:43], v[79:80], -0.5, v[69:70]
	v_fma_f64 v[79:80], v[95:96], -0.5, v[26:27]
	v_add_f64 v[60:61], v[60:61], v[89:90]
	v_fma_f64 v[89:90], v[64:65], s[12:13], v[32:33]
	v_add_f64 v[12:13], v[12:13], -v[14:15]
	v_fma_f64 v[34:35], v[34:35], -0.5, v[26:27]
	v_add_f64 v[69:70], v[83:84], v[87:88]
	v_add_f64 v[83:84], v[91:92], v[93:94]
	v_fma_f64 v[32:33], v[64:65], s[8:9], v[32:33]
	v_fma_f64 v[91:92], v[16:17], s[8:9], v[42:43]
	;; [unrolled: 1-line block ×5, first 2 shown]
	v_add_f64 v[4:5], v[4:5], v[60:61]
	v_fma_f64 v[60:61], v[16:17], s[4:5], v[89:90]
	v_fma_f64 v[95:96], v[12:13], s[8:9], v[34:35]
	;; [unrolled: 1-line block ×8, first 2 shown]
	v_add_f64 v[4:5], v[14:15], v[4:5]
	v_fma_f64 v[12:13], v[69:70], s[0:1], v[60:61]
	v_fma_f64 v[60:61], v[66:67], v[56:57], v[10:11]
	v_mul_f64 v[10:11], v[73:74], v[38:39]
	v_mul_f64 v[14:15], v[62:63], v[30:31]
	v_add_f64 v[97:98], v[44:45], -v[0:1]
	v_add_f64 v[99:100], v[46:47], -v[77:78]
	v_add_f64 v[26:27], v[26:27], v[44:45]
	v_fma_f64 v[30:31], v[73:74], v[36:37], v[81:82]
	v_mul_f64 v[20:21], v[75:76], v[20:21]
	v_mul_f64 v[38:39], v[66:67], v[58:59]
	v_fma_f64 v[44:45], v[62:63], v[28:29], v[85:86]
	v_add_f64 v[58:59], v[52:53], v[60:61]
	v_fma_f64 v[36:37], v[24:25], v[36:37], -v[10:11]
	v_fma_f64 v[62:63], v[2:3], v[28:29], -v[14:15]
	v_add_f64 v[87:88], v[97:98], v[99:100]
	v_fma_f64 v[2:3], v[54:55], s[6:7], v[95:96]
	v_fma_f64 v[18:19], v[22:23], v[18:19], -v[20:21]
	v_fma_f64 v[6:7], v[6:7], v[56:57], -v[38:39]
	v_add_f64 v[20:21], v[30:31], v[44:45]
	v_fma_f64 v[22:23], v[58:59], -0.5, v[71:72]
	v_add_f64 v[0:1], v[0:1], v[26:27]
	v_add_f64 v[24:25], v[36:37], -v[62:63]
	v_add_f64 v[26:27], v[44:45], -v[60:61]
	v_fma_f64 v[10:11], v[87:88], s[0:1], v[2:3]
	v_add_f64 v[2:3], v[30:31], -v[52:53]
	v_add_f64 v[28:29], v[18:19], -v[6:7]
	v_fma_f64 v[20:21], v[20:21], -0.5, v[71:72]
	v_fma_f64 v[14:15], v[54:55], s[4:5], v[89:90]
	v_add_f64 v[0:1], v[0:1], v[77:78]
	v_fma_f64 v[38:39], v[24:25], s[8:9], v[22:23]
	v_fma_f64 v[22:23], v[24:25], s[12:13], v[22:23]
	v_add_f64 v[54:55], v[52:53], -v[30:31]
	v_add_f64 v[56:57], v[60:61], -v[44:45]
	v_add_f64 v[26:27], v[2:3], v[26:27]
	v_fma_f64 v[58:59], v[28:29], s[12:13], v[20:21]
	v_fma_f64 v[20:21], v[28:29], s[8:9], v[20:21]
	;; [unrolled: 1-line block ×6, first 2 shown]
	v_add_f64 v[64:65], v[52:53], v[71:72]
	v_add_f64 v[28:29], v[18:19], v[6:7]
	;; [unrolled: 1-line block ×4, first 2 shown]
	v_fma_f64 v[46:47], v[24:25], s[4:5], v[58:59]
	v_fma_f64 v[54:55], v[24:25], s[6:7], v[20:21]
	;; [unrolled: 1-line block ×4, first 2 shown]
	v_add_f64 v[26:27], v[36:37], v[62:63]
	v_add_f64 v[56:57], v[30:31], v[64:65]
	v_add_f64 v[22:23], v[30:31], -v[44:45]
	v_fma_f64 v[30:31], v[28:29], -0.5, v[8:9]
	v_add_f64 v[52:53], v[52:53], -v[60:61]
	v_fma_f64 v[28:29], v[0:1], s[0:1], v[46:47]
	v_fma_f64 v[38:39], v[0:1], s[0:1], v[54:55]
	v_add_f64 v[54:55], v[62:63], -v[6:7]
	v_fma_f64 v[26:27], v[26:27], -0.5, v[8:9]
	v_add_f64 v[0:1], v[44:45], v[56:57]
	v_add_f64 v[44:45], v[36:37], -v[18:19]
	v_fma_f64 v[56:57], v[22:23], s[12:13], v[30:31]
	v_add_f64 v[8:9], v[8:9], v[18:19]
	v_fma_f64 v[30:31], v[22:23], s[8:9], v[30:31]
	v_add_f64 v[58:59], v[18:19], -v[36:37]
	v_add_f64 v[64:65], v[6:7], -v[62:63]
	v_fma_f64 v[18:19], v[52:53], s[8:9], v[26:27]
	v_fma_f64 v[26:27], v[52:53], s[12:13], v[26:27]
	s_mov_b32 s8, 0x5d9f7391
	v_add_f64 v[46:47], v[60:61], v[0:1]
	v_add_f64 v[0:1], v[44:45], v[54:55]
	v_fma_f64 v[44:45], v[52:53], s[6:7], v[56:57]
	v_mul_hi_u32 v56, v68, s8
	v_add_f64 v[8:9], v[36:37], v[8:9]
	v_fma_f64 v[30:31], v[52:53], s[4:5], v[30:31]
	v_fma_f64 v[36:37], v[22:23], s[6:7], v[18:19]
	v_lshrrev_b32_e32 v18, 7, v56
	v_mul_u32_u24_e32 v18, 0x15e, v18
	v_add_f64 v[52:53], v[58:59], v[64:65]
	v_sub_u32_e32 v58, v68, v18
	v_fma_f64 v[54:55], v[22:23], s[4:5], v[26:27]
	v_mad_u64_u32 v[56:57], s[4:5], s2, v58, 0
	v_add_f64 v[8:9], v[8:9], v[62:63]
	v_fma_f64 v[18:19], v[0:1], s[0:1], v[44:45]
	v_fma_f64 v[22:23], v[0:1], s[0:1], v[30:31]
	v_mov_b32_e32 v0, v57
	v_mad_u64_u32 v[0:1], s[4:5], s3, v58, v[0:1]
	v_add_u32_e32 v30, 0x15e, v58
	v_fma_f64 v[16:17], v[69:70], s[0:1], v[16:17]
	v_mov_b32_e32 v57, v0
	v_lshlrev_b64 v[0:1], 4, v[50:51]
	v_add_f64 v[44:45], v[8:9], v[6:7]
	v_mov_b32_e32 v6, s11
	v_add_co_u32_e32 v8, vcc, s10, v0
	v_fma_f64 v[42:43], v[40:41], s[0:1], v[42:43]
	v_fma_f64 v[40:41], v[83:84], s[0:1], v[79:80]
	;; [unrolled: 1-line block ×5, first 2 shown]
	v_addc_co_u32_e32 v9, vcc, v6, v1, vcc
	v_mad_u64_u32 v[6:7], s[0:1], s2, v30, 0
	v_lshlrev_b64 v[0:1], 4, v[48:49]
	v_add_co_u32_e32 v31, vcc, v8, v0
	v_addc_co_u32_e32 v48, vcc, v9, v1, vcc
	v_lshlrev_b64 v[0:1], 4, v[56:57]
	v_mad_u64_u32 v[7:8], s[0:1], s3, v30, v[7:8]
	v_add_co_u32_e32 v0, vcc, v31, v0
	v_addc_co_u32_e32 v1, vcc, v48, v1, vcc
	v_add_u32_e32 v8, 0x2bc, v58
	global_store_dwordx4 v[0:1], v[44:47], off
	v_lshlrev_b64 v[0:1], 4, v[6:7]
	v_mad_u64_u32 v[6:7], s[0:1], s2, v8, 0
	v_add_u32_e32 v30, 0x41a, v58
	v_add_co_u32_e32 v0, vcc, v31, v0
	v_mad_u64_u32 v[7:8], s[0:1], s3, v8, v[7:8]
	v_mad_u64_u32 v[8:9], s[0:1], s2, v30, 0
	v_addc_co_u32_e32 v1, vcc, v48, v1, vcc
	global_store_dwordx4 v[0:1], v[36:39], off
	v_lshlrev_b64 v[0:1], 4, v[6:7]
	v_mov_b32_e32 v6, v9
	v_mad_u64_u32 v[6:7], s[0:1], s3, v30, v[6:7]
	v_add_co_u32_e32 v0, vcc, v31, v0
	v_addc_co_u32_e32 v1, vcc, v48, v1, vcc
	v_mov_b32_e32 v9, v6
	global_store_dwordx4 v[0:1], v[22:25], off
	v_lshlrev_b64 v[0:1], 4, v[8:9]
	v_add_u32_e32 v8, 0x578, v58
	v_mad_u64_u32 v[6:7], s[0:1], s2, v8, 0
	v_add_u32_e32 v9, 0xaf, v68
	v_mul_hi_u32 v22, v9, s8
	v_mad_u64_u32 v[7:8], s[0:1], s3, v8, v[7:8]
	s_movk_i32 s0, 0x6d6
	v_lshrrev_b32_e32 v8, 7, v22
	v_mul_u32_u24_e32 v22, 0x15e, v8
	v_sub_u32_e32 v9, v9, v22
	v_mad_u32_u24 v22, v8, s0, v9
	v_mad_u64_u32 v[8:9], s[0:1], s2, v22, 0
	v_add_co_u32_e32 v0, vcc, v31, v0
	v_addc_co_u32_e32 v1, vcc, v48, v1, vcc
	global_store_dwordx4 v[0:1], v[18:21], off
	v_lshlrev_b64 v[0:1], 4, v[6:7]
	v_mov_b32_e32 v6, v9
	v_mad_u64_u32 v[6:7], s[0:1], s3, v22, v[6:7]
	v_add_co_u32_e32 v0, vcc, v31, v0
	v_addc_co_u32_e32 v1, vcc, v48, v1, vcc
	v_mov_b32_e32 v9, v6
	global_store_dwordx4 v[0:1], v[26:29], off
	v_lshlrev_b64 v[0:1], 4, v[8:9]
	v_add_u32_e32 v8, 0x15e, v22
	v_mad_u64_u32 v[6:7], s[0:1], s2, v8, 0
	v_add_u32_e32 v18, 0x2bc, v22
	v_add_co_u32_e32 v0, vcc, v31, v0
	v_mad_u64_u32 v[7:8], s[0:1], s3, v8, v[7:8]
	v_mad_u64_u32 v[8:9], s[0:1], s2, v18, 0
	v_addc_co_u32_e32 v1, vcc, v48, v1, vcc
	global_store_dwordx4 v[0:1], v[2:5], off
	v_lshlrev_b64 v[0:1], 4, v[6:7]
	v_mov_b32_e32 v2, v9
	v_mad_u64_u32 v[2:3], s[0:1], s3, v18, v[2:3]
	v_add_u32_e32 v4, 0x41a, v22
	v_add_co_u32_e32 v0, vcc, v31, v0
	v_mov_b32_e32 v9, v2
	v_mad_u64_u32 v[2:3], s[0:1], s2, v4, 0
	v_addc_co_u32_e32 v1, vcc, v48, v1, vcc
	v_mad_u64_u32 v[3:4], s[0:1], s3, v4, v[3:4]
	v_add_u32_e32 v6, 0x578, v22
	global_store_dwordx4 v[0:1], v[14:17], off
	v_lshlrev_b64 v[0:1], 4, v[8:9]
	v_mad_u64_u32 v[4:5], s[0:1], s2, v6, 0
	v_add_co_u32_e32 v0, vcc, v31, v0
	v_addc_co_u32_e32 v1, vcc, v48, v1, vcc
	global_store_dwordx4 v[0:1], v[40:43], off
	v_lshlrev_b64 v[0:1], 4, v[2:3]
	v_mov_b32_e32 v2, v5
	v_mad_u64_u32 v[2:3], s[0:1], s3, v6, v[2:3]
	v_add_co_u32_e32 v0, vcc, v31, v0
	v_addc_co_u32_e32 v1, vcc, v48, v1, vcc
	v_mov_b32_e32 v5, v2
	global_store_dwordx4 v[0:1], v[32:35], off
	v_lshlrev_b64 v[0:1], 4, v[4:5]
	v_add_co_u32_e32 v0, vcc, v31, v0
	v_addc_co_u32_e32 v1, vcc, v48, v1, vcc
	global_store_dwordx4 v[0:1], v[10:13], off
.LBB0_23:
	s_endpgm
	.section	.rodata,"a",@progbits
	.p2align	6, 0x0
	.amdhsa_kernel fft_rtc_fwd_len1750_factors_2_5_5_7_5_wgs_175_tpt_175_halfLds_dp_op_CI_CI_sbrr_dirReg
		.amdhsa_group_segment_fixed_size 0
		.amdhsa_private_segment_fixed_size 0
		.amdhsa_kernarg_size 104
		.amdhsa_user_sgpr_count 6
		.amdhsa_user_sgpr_private_segment_buffer 1
		.amdhsa_user_sgpr_dispatch_ptr 0
		.amdhsa_user_sgpr_queue_ptr 0
		.amdhsa_user_sgpr_kernarg_segment_ptr 1
		.amdhsa_user_sgpr_dispatch_id 0
		.amdhsa_user_sgpr_flat_scratch_init 0
		.amdhsa_user_sgpr_private_segment_size 0
		.amdhsa_uses_dynamic_stack 0
		.amdhsa_system_sgpr_private_segment_wavefront_offset 0
		.amdhsa_system_sgpr_workgroup_id_x 1
		.amdhsa_system_sgpr_workgroup_id_y 0
		.amdhsa_system_sgpr_workgroup_id_z 0
		.amdhsa_system_sgpr_workgroup_info 0
		.amdhsa_system_vgpr_workitem_id 0
		.amdhsa_next_free_vgpr 111
		.amdhsa_next_free_sgpr 32
		.amdhsa_reserve_vcc 1
		.amdhsa_reserve_flat_scratch 0
		.amdhsa_float_round_mode_32 0
		.amdhsa_float_round_mode_16_64 0
		.amdhsa_float_denorm_mode_32 3
		.amdhsa_float_denorm_mode_16_64 3
		.amdhsa_dx10_clamp 1
		.amdhsa_ieee_mode 1
		.amdhsa_fp16_overflow 0
		.amdhsa_exception_fp_ieee_invalid_op 0
		.amdhsa_exception_fp_denorm_src 0
		.amdhsa_exception_fp_ieee_div_zero 0
		.amdhsa_exception_fp_ieee_overflow 0
		.amdhsa_exception_fp_ieee_underflow 0
		.amdhsa_exception_fp_ieee_inexact 0
		.amdhsa_exception_int_div_zero 0
	.end_amdhsa_kernel
	.text
.Lfunc_end0:
	.size	fft_rtc_fwd_len1750_factors_2_5_5_7_5_wgs_175_tpt_175_halfLds_dp_op_CI_CI_sbrr_dirReg, .Lfunc_end0-fft_rtc_fwd_len1750_factors_2_5_5_7_5_wgs_175_tpt_175_halfLds_dp_op_CI_CI_sbrr_dirReg
                                        ; -- End function
	.section	.AMDGPU.csdata,"",@progbits
; Kernel info:
; codeLenInByte = 10456
; NumSgprs: 36
; NumVgprs: 111
; ScratchSize: 0
; MemoryBound: 1
; FloatMode: 240
; IeeeMode: 1
; LDSByteSize: 0 bytes/workgroup (compile time only)
; SGPRBlocks: 4
; VGPRBlocks: 27
; NumSGPRsForWavesPerEU: 36
; NumVGPRsForWavesPerEU: 111
; Occupancy: 2
; WaveLimiterHint : 1
; COMPUTE_PGM_RSRC2:SCRATCH_EN: 0
; COMPUTE_PGM_RSRC2:USER_SGPR: 6
; COMPUTE_PGM_RSRC2:TRAP_HANDLER: 0
; COMPUTE_PGM_RSRC2:TGID_X_EN: 1
; COMPUTE_PGM_RSRC2:TGID_Y_EN: 0
; COMPUTE_PGM_RSRC2:TGID_Z_EN: 0
; COMPUTE_PGM_RSRC2:TIDIG_COMP_CNT: 0
	.type	__hip_cuid_2281ac2ce8800473,@object ; @__hip_cuid_2281ac2ce8800473
	.section	.bss,"aw",@nobits
	.globl	__hip_cuid_2281ac2ce8800473
__hip_cuid_2281ac2ce8800473:
	.byte	0                               ; 0x0
	.size	__hip_cuid_2281ac2ce8800473, 1

	.ident	"AMD clang version 19.0.0git (https://github.com/RadeonOpenCompute/llvm-project roc-6.4.0 25133 c7fe45cf4b819c5991fe208aaa96edf142730f1d)"
	.section	".note.GNU-stack","",@progbits
	.addrsig
	.addrsig_sym __hip_cuid_2281ac2ce8800473
	.amdgpu_metadata
---
amdhsa.kernels:
  - .args:
      - .actual_access:  read_only
        .address_space:  global
        .offset:         0
        .size:           8
        .value_kind:     global_buffer
      - .offset:         8
        .size:           8
        .value_kind:     by_value
      - .actual_access:  read_only
        .address_space:  global
        .offset:         16
        .size:           8
        .value_kind:     global_buffer
      - .actual_access:  read_only
        .address_space:  global
        .offset:         24
        .size:           8
        .value_kind:     global_buffer
      - .actual_access:  read_only
        .address_space:  global
        .offset:         32
        .size:           8
        .value_kind:     global_buffer
      - .offset:         40
        .size:           8
        .value_kind:     by_value
      - .actual_access:  read_only
        .address_space:  global
        .offset:         48
        .size:           8
        .value_kind:     global_buffer
      - .actual_access:  read_only
        .address_space:  global
        .offset:         56
        .size:           8
        .value_kind:     global_buffer
      - .offset:         64
        .size:           4
        .value_kind:     by_value
      - .actual_access:  read_only
        .address_space:  global
        .offset:         72
        .size:           8
        .value_kind:     global_buffer
      - .actual_access:  read_only
        .address_space:  global
        .offset:         80
        .size:           8
        .value_kind:     global_buffer
      - .actual_access:  read_only
        .address_space:  global
        .offset:         88
        .size:           8
        .value_kind:     global_buffer
      - .actual_access:  write_only
        .address_space:  global
        .offset:         96
        .size:           8
        .value_kind:     global_buffer
    .group_segment_fixed_size: 0
    .kernarg_segment_align: 8
    .kernarg_segment_size: 104
    .language:       OpenCL C
    .language_version:
      - 2
      - 0
    .max_flat_workgroup_size: 175
    .name:           fft_rtc_fwd_len1750_factors_2_5_5_7_5_wgs_175_tpt_175_halfLds_dp_op_CI_CI_sbrr_dirReg
    .private_segment_fixed_size: 0
    .sgpr_count:     36
    .sgpr_spill_count: 0
    .symbol:         fft_rtc_fwd_len1750_factors_2_5_5_7_5_wgs_175_tpt_175_halfLds_dp_op_CI_CI_sbrr_dirReg.kd
    .uniform_work_group_size: 1
    .uses_dynamic_stack: false
    .vgpr_count:     111
    .vgpr_spill_count: 0
    .wavefront_size: 64
amdhsa.target:   amdgcn-amd-amdhsa--gfx906
amdhsa.version:
  - 1
  - 2
...

	.end_amdgpu_metadata
